;; amdgpu-corpus repo=ROCm/rocFFT kind=compiled arch=gfx906 opt=O3
	.text
	.amdgcn_target "amdgcn-amd-amdhsa--gfx906"
	.amdhsa_code_object_version 6
	.protected	fft_rtc_back_len72_factors_8_3_3_wgs_384_tpt_24_half_op_CI_CI_sbcc_twdbase6_3step_dirReg ; -- Begin function fft_rtc_back_len72_factors_8_3_3_wgs_384_tpt_24_half_op_CI_CI_sbcc_twdbase6_3step_dirReg
	.globl	fft_rtc_back_len72_factors_8_3_3_wgs_384_tpt_24_half_op_CI_CI_sbcc_twdbase6_3step_dirReg
	.p2align	8
	.type	fft_rtc_back_len72_factors_8_3_3_wgs_384_tpt_24_half_op_CI_CI_sbcc_twdbase6_3step_dirReg,@function
fft_rtc_back_len72_factors_8_3_3_wgs_384_tpt_24_half_op_CI_CI_sbcc_twdbase6_3step_dirReg: ; @fft_rtc_back_len72_factors_8_3_3_wgs_384_tpt_24_half_op_CI_CI_sbcc_twdbase6_3step_dirReg
; %bb.0:
	s_load_dwordx8 s[8:15], s[4:5], 0x8
	s_load_dwordx2 s[2:3], s[4:5], 0x28
	s_movk_i32 s0, 0xc0
	v_cmp_gt_u32_e32 vcc, s0, v0
	s_and_saveexec_b64 s[0:1], vcc
	s_cbranch_execz .LBB0_2
; %bb.1:
	v_lshlrev_b32_e32 v1, 2, v0
	s_waitcnt lgkmcnt(0)
	global_load_dword v2, v1, s[8:9]
	v_add_u32_e32 v1, 0, v1
	s_waitcnt vmcnt(0)
	ds_write_b32 v1, v2 offset:4608
.LBB0_2:
	s_or_b64 exec, exec, s[0:1]
	s_waitcnt lgkmcnt(0)
	s_load_dwordx2 s[30:31], s[12:13], 0x8
	s_mov_b32 s7, 0
	s_mov_b64 s[28:29], 0
	s_waitcnt lgkmcnt(0)
	s_add_u32 s0, s30, -1
	s_addc_u32 s1, s31, -1
	s_lshr_b64 s[0:1], s[0:1], 4
	s_add_u32 s34, s0, 1
	s_addc_u32 s35, s1, 0
	v_mov_b32_e32 v1, s34
	v_mov_b32_e32 v2, s35
	v_cmp_lt_u64_e32 vcc, s[6:7], v[1:2]
	s_cbranch_vccnz .LBB0_4
; %bb.3:
	v_cvt_f32_u32_e32 v1, s34
	s_sub_i32 s0, 0, s34
	s_mov_b32 s29, s7
	v_rcp_iflag_f32_e32 v1, v1
	v_mul_f32_e32 v1, 0x4f7ffffe, v1
	v_cvt_u32_f32_e32 v1, v1
	v_readfirstlane_b32 s1, v1
	s_mul_i32 s0, s0, s1
	s_mul_hi_u32 s0, s1, s0
	s_add_i32 s1, s1, s0
	s_mul_hi_u32 s0, s6, s1
	s_mul_i32 s8, s0, s34
	s_sub_i32 s8, s6, s8
	s_add_i32 s1, s0, 1
	s_sub_i32 s9, s8, s34
	s_cmp_ge_u32 s8, s34
	s_cselect_b32 s0, s1, s0
	s_cselect_b32 s8, s9, s8
	s_add_i32 s1, s0, 1
	s_cmp_ge_u32 s8, s34
	s_cselect_b32 s28, s1, s0
.LBB0_4:
	s_load_dwordx4 s[20:23], s[4:5], 0x60
	s_load_dwordx2 s[8:9], s[4:5], 0x0
	s_load_dwordx4 s[24:27], s[14:15], 0x0
	s_mul_i32 s0, s28, s35
	s_mul_hi_u32 s1, s28, s34
	s_add_i32 s1, s1, s0
	s_mul_i32 s0, s28, s34
	s_sub_u32 s0, s6, s0
	s_subb_u32 s1, 0, s1
	v_mov_b32_e32 v1, s0
	s_load_dwordx4 s[16:19], s[2:3], 0x0
	v_alignbit_b32 v1, s1, v1, 28
	s_waitcnt lgkmcnt(0)
	v_mul_lo_u32 v2, s26, v1
	s_lshl_b64 s[4:5], s[0:1], 4
	s_mul_hi_u32 s0, s26, s4
	v_mul_lo_u32 v1, s18, v1
	v_add_u32_e32 v2, s0, v2
	s_mul_i32 s0, s27, s4
	v_add_u32_e32 v5, s0, v2
	s_mul_i32 s0, s26, s4
	v_mov_b32_e32 v6, s0
	s_mul_hi_u32 s0, s18, s4
	v_add_u32_e32 v1, s0, v1
	s_mul_i32 s0, s19, s4
	v_add_u32_e32 v2, s0, v1
	v_cmp_lt_u64_e64 s[0:1], s[10:11], 3
	s_mul_i32 s33, s18, s4
	v_mov_b32_e32 v1, s33
	s_and_b64 vcc, exec, s[0:1]
	s_cbranch_vccnz .LBB0_13
; %bb.5:
	s_add_u32 s36, s2, 16
	s_addc_u32 s37, s3, 0
	s_add_u32 s38, s14, 16
	s_addc_u32 s39, s15, 0
	s_add_u32 s12, s12, 16
	v_mov_b32_e32 v3, s10
	s_addc_u32 s13, s13, 0
	s_mov_b64 s[40:41], 2
	s_mov_b32 s42, 0
	v_mov_b32_e32 v4, s11
	s_branch .LBB0_7
.LBB0_6:                                ;   in Loop: Header=BB0_7 Depth=1
	s_mul_i32 s33, s44, s35
	s_mul_hi_u32 s35, s44, s34
	s_add_i32 s33, s35, s33
	s_mul_i32 s35, s45, s34
	s_add_i32 s35, s33, s35
	s_mul_i32 s33, s0, s45
	s_mul_hi_u32 s43, s0, s44
	s_load_dwordx2 s[46:47], s[38:39], 0x0
	s_add_i32 s33, s43, s33
	s_mul_i32 s43, s1, s44
	s_add_i32 s33, s33, s43
	s_mul_i32 s43, s0, s44
	s_sub_u32 s43, s28, s43
	s_subb_u32 s33, s29, s33
	s_waitcnt lgkmcnt(0)
	s_mul_i32 s28, s46, s33
	s_mul_hi_u32 s29, s46, s43
	s_add_i32 s28, s29, s28
	s_mul_i32 s29, s47, s43
	s_add_i32 s28, s28, s29
	v_mov_b32_e32 v7, s28
	s_load_dwordx2 s[28:29], s[36:37], 0x0
	s_mul_i32 s34, s44, s34
	s_mul_i32 s44, s46, s43
	v_add_co_u32_e32 v6, vcc, s44, v6
	s_waitcnt lgkmcnt(0)
	s_mul_i32 s33, s28, s33
	s_mul_hi_u32 s44, s28, s43
	s_add_i32 s33, s44, s33
	s_mul_i32 s29, s29, s43
	s_add_i32 s29, s33, s29
	s_add_u32 s40, s40, 1
	s_addc_u32 s41, s41, 0
	v_addc_co_u32_e32 v5, vcc, v7, v5, vcc
	s_mul_i32 s28, s28, s43
	s_add_u32 s36, s36, 8
	v_mov_b32_e32 v7, s29
	v_add_co_u32_e32 v1, vcc, s28, v1
	s_addc_u32 s37, s37, 0
	v_addc_co_u32_e32 v2, vcc, v7, v2, vcc
	s_add_u32 s38, s38, 8
	s_addc_u32 s39, s39, 0
	v_cmp_ge_u64_e32 vcc, s[40:41], v[3:4]
	s_add_u32 s12, s12, 8
	s_addc_u32 s13, s13, 0
	s_mov_b64 s[28:29], s[0:1]
	s_cbranch_vccnz .LBB0_11
.LBB0_7:                                ; =>This Inner Loop Header: Depth=1
	s_load_dwordx2 s[44:45], s[12:13], 0x0
	s_waitcnt lgkmcnt(0)
	s_or_b64 s[0:1], s[28:29], s[44:45]
	s_mov_b32 s43, s1
	s_cmp_lg_u64 s[42:43], 0
	s_cbranch_scc0 .LBB0_9
; %bb.8:                                ;   in Loop: Header=BB0_7 Depth=1
	v_cvt_f32_u32_e32 v7, s44
	v_cvt_f32_u32_e32 v8, s45
	s_sub_u32 s0, 0, s44
	s_subb_u32 s1, 0, s45
	v_mac_f32_e32 v7, 0x4f800000, v8
	v_rcp_f32_e32 v7, v7
	v_mul_f32_e32 v7, 0x5f7ffffc, v7
	v_mul_f32_e32 v8, 0x2f800000, v7
	v_trunc_f32_e32 v8, v8
	v_mac_f32_e32 v7, 0xcf800000, v8
	v_cvt_u32_f32_e32 v8, v8
	v_cvt_u32_f32_e32 v7, v7
	v_readfirstlane_b32 s33, v8
	v_readfirstlane_b32 s43, v7
	s_mul_i32 s46, s0, s33
	s_mul_hi_u32 s48, s0, s43
	s_mul_i32 s47, s1, s43
	s_add_i32 s46, s48, s46
	s_mul_i32 s49, s0, s43
	s_add_i32 s46, s46, s47
	s_mul_hi_u32 s47, s43, s46
	s_mul_i32 s48, s43, s46
	s_mul_hi_u32 s43, s43, s49
	s_add_u32 s43, s43, s48
	s_addc_u32 s47, 0, s47
	s_mul_hi_u32 s50, s33, s49
	s_mul_i32 s49, s33, s49
	s_add_u32 s43, s43, s49
	s_mul_hi_u32 s48, s33, s46
	s_addc_u32 s43, s47, s50
	s_addc_u32 s47, s48, 0
	s_mul_i32 s46, s33, s46
	s_add_u32 s43, s43, s46
	s_addc_u32 s46, 0, s47
	v_add_co_u32_e32 v7, vcc, s43, v7
	s_cmp_lg_u64 vcc, 0
	s_addc_u32 s33, s33, s46
	v_readfirstlane_b32 s46, v7
	s_mul_i32 s43, s0, s33
	s_mul_hi_u32 s47, s0, s46
	s_add_i32 s43, s47, s43
	s_mul_i32 s1, s1, s46
	s_add_i32 s43, s43, s1
	s_mul_i32 s0, s0, s46
	s_mul_hi_u32 s47, s33, s0
	s_mul_i32 s48, s33, s0
	s_mul_i32 s50, s46, s43
	s_mul_hi_u32 s0, s46, s0
	s_mul_hi_u32 s49, s46, s43
	s_add_u32 s0, s0, s50
	s_addc_u32 s46, 0, s49
	s_add_u32 s0, s0, s48
	s_mul_hi_u32 s1, s33, s43
	s_addc_u32 s0, s46, s47
	s_addc_u32 s1, s1, 0
	s_mul_i32 s43, s33, s43
	s_add_u32 s0, s0, s43
	s_addc_u32 s1, 0, s1
	v_add_co_u32_e32 v7, vcc, s0, v7
	s_cmp_lg_u64 vcc, 0
	s_addc_u32 s0, s33, s1
	v_readfirstlane_b32 s43, v7
	s_mul_i32 s33, s28, s0
	s_mul_hi_u32 s46, s28, s43
	s_mul_hi_u32 s1, s28, s0
	s_add_u32 s33, s46, s33
	s_addc_u32 s1, 0, s1
	s_mul_hi_u32 s47, s29, s43
	s_mul_i32 s43, s29, s43
	s_add_u32 s33, s33, s43
	s_mul_hi_u32 s46, s29, s0
	s_addc_u32 s1, s1, s47
	s_addc_u32 s33, s46, 0
	s_mul_i32 s0, s29, s0
	s_add_u32 s43, s1, s0
	s_addc_u32 s33, 0, s33
	s_mul_i32 s0, s44, s33
	s_mul_hi_u32 s1, s44, s43
	s_add_i32 s0, s1, s0
	s_mul_i32 s1, s45, s43
	s_add_i32 s46, s0, s1
	s_mul_i32 s1, s44, s43
	v_mov_b32_e32 v7, s1
	s_sub_i32 s0, s29, s46
	v_sub_co_u32_e32 v7, vcc, s28, v7
	s_cmp_lg_u64 vcc, 0
	s_subb_u32 s47, s0, s45
	v_subrev_co_u32_e64 v8, s[0:1], s44, v7
	s_cmp_lg_u64 s[0:1], 0
	s_subb_u32 s0, s47, 0
	s_cmp_ge_u32 s0, s45
	v_readfirstlane_b32 s47, v8
	s_cselect_b32 s1, -1, 0
	s_cmp_ge_u32 s47, s44
	s_cselect_b32 s47, -1, 0
	s_cmp_eq_u32 s0, s45
	s_cselect_b32 s0, s47, s1
	s_add_u32 s1, s43, 1
	s_addc_u32 s47, s33, 0
	s_add_u32 s48, s43, 2
	s_addc_u32 s49, s33, 0
	s_cmp_lg_u32 s0, 0
	s_cselect_b32 s0, s48, s1
	s_cselect_b32 s1, s49, s47
	s_cmp_lg_u64 vcc, 0
	s_subb_u32 s46, s29, s46
	s_cmp_ge_u32 s46, s45
	v_readfirstlane_b32 s48, v7
	s_cselect_b32 s47, -1, 0
	s_cmp_ge_u32 s48, s44
	s_cselect_b32 s48, -1, 0
	s_cmp_eq_u32 s46, s45
	s_cselect_b32 s46, s48, s47
	s_cmp_lg_u32 s46, 0
	s_cselect_b32 s1, s1, s33
	s_cselect_b32 s0, s0, s43
	s_cbranch_execnz .LBB0_6
	s_branch .LBB0_10
.LBB0_9:                                ;   in Loop: Header=BB0_7 Depth=1
                                        ; implicit-def: $sgpr0_sgpr1
.LBB0_10:                               ;   in Loop: Header=BB0_7 Depth=1
	v_cvt_f32_u32_e32 v7, s44
	s_sub_i32 s0, 0, s44
	v_rcp_iflag_f32_e32 v7, v7
	v_mul_f32_e32 v7, 0x4f7ffffe, v7
	v_cvt_u32_f32_e32 v7, v7
	v_readfirstlane_b32 s1, v7
	s_mul_i32 s0, s0, s1
	s_mul_hi_u32 s0, s1, s0
	s_add_i32 s1, s1, s0
	s_mul_hi_u32 s0, s28, s1
	s_mul_i32 s33, s0, s44
	s_sub_i32 s33, s28, s33
	s_add_i32 s1, s0, 1
	s_sub_i32 s43, s33, s44
	s_cmp_ge_u32 s33, s44
	s_cselect_b32 s0, s1, s0
	s_cselect_b32 s33, s43, s33
	s_add_i32 s1, s0, 1
	s_cmp_ge_u32 s33, s44
	s_cselect_b32 s0, s1, s0
	s_mov_b32 s1, s42
	s_branch .LBB0_6
.LBB0_11:
	v_mov_b32_e32 v3, s34
	v_mov_b32_e32 v4, s35
	v_cmp_lt_u64_e32 vcc, s[6:7], v[3:4]
	s_mov_b64 s[28:29], 0
	s_cbranch_vccnz .LBB0_13
; %bb.12:
	v_cvt_f32_u32_e32 v3, s34
	s_sub_i32 s0, 0, s34
	v_rcp_iflag_f32_e32 v3, v3
	v_mul_f32_e32 v3, 0x4f7ffffe, v3
	v_cvt_u32_f32_e32 v3, v3
	v_readfirstlane_b32 s1, v3
	s_mul_i32 s0, s0, s1
	s_mul_hi_u32 s0, s1, s0
	s_add_i32 s1, s1, s0
	s_mul_hi_u32 s0, s6, s1
	s_mul_i32 s7, s0, s34
	s_sub_i32 s6, s6, s7
	s_add_i32 s1, s0, 1
	s_sub_i32 s7, s6, s34
	s_cmp_ge_u32 s6, s34
	s_cselect_b32 s0, s1, s0
	s_cselect_b32 s6, s7, s6
	s_add_i32 s1, s0, 1
	s_cmp_ge_u32 s6, s34
	s_cselect_b32 s28, s1, s0
.LBB0_13:
	s_lshl_b64 s[0:1], s[10:11], 3
	s_add_u32 s6, s14, s0
	s_addc_u32 s7, s15, s1
	s_load_dwordx2 s[6:7], s[6:7], 0x0
	v_lshrrev_b32_e32 v8, 4, v0
	v_and_b32_e32 v7, 15, v0
	v_add_u32_e32 v15, 9, v8
	v_add_u32_e32 v14, 18, v8
	s_waitcnt lgkmcnt(0)
	s_mul_i32 s7, s7, s28
	s_mul_hi_u32 s10, s6, s28
	s_mul_i32 s6, s6, s28
	s_add_i32 s7, s10, s7
	v_add_co_u32_e32 v3, vcc, s6, v6
	s_add_u32 s6, s2, s0
	v_mov_b32_e32 v4, s7
	s_addc_u32 s7, s3, s1
	v_addc_co_u32_e32 v4, vcc, v4, v5, vcc
	s_add_u32 s0, s4, 16
	v_mov_b32_e32 v5, s30
	s_addc_u32 s1, s5, 0
	v_mov_b32_e32 v6, s31
	v_cmp_le_u64_e32 vcc, s[0:1], v[5:6]
	s_movk_i32 s0, 0x90
	v_cmp_gt_u32_e64 s[0:1], s0, v0
	v_lshlrev_b64 v[5:6], 2, v[3:4]
	s_and_b64 s[2:3], s[0:1], vcc
	v_add_u32_e32 v13, 27, v8
	v_add_u32_e32 v12, 36, v8
	;; [unrolled: 1-line block ×5, first 2 shown]
                                        ; implicit-def: $vgpr16
                                        ; implicit-def: $vgpr20
                                        ; implicit-def: $vgpr18
                                        ; implicit-def: $vgpr22
                                        ; implicit-def: $vgpr17
                                        ; implicit-def: $vgpr21
                                        ; implicit-def: $vgpr19
                                        ; implicit-def: $vgpr23
	s_and_saveexec_b64 s[10:11], s[2:3]
	s_cbranch_execz .LBB0_15
; %bb.14:
	v_mad_u64_u32 v[3:4], s[2:3], s26, v7, 0
	v_mad_u64_u32 v[16:17], s[2:3], s24, v8, 0
	;; [unrolled: 1-line block ×3, first 2 shown]
	v_mov_b32_e32 v4, v17
	v_mad_u64_u32 v[19:20], s[2:3], s25, v8, v[4:5]
	v_mov_b32_e32 v4, v18
	v_mov_b32_e32 v18, s21
	v_add_co_u32_e64 v20, s[2:3], s20, v5
	v_mov_b32_e32 v17, v19
	v_addc_co_u32_e64 v21, s[2:3], v18, v6, s[2:3]
	v_mad_u64_u32 v[18:19], s[2:3], s24, v15, 0
	v_lshlrev_b64 v[3:4], 2, v[3:4]
	v_add_co_u32_e64 v36, s[2:3], v20, v3
	v_addc_co_u32_e64 v37, s[2:3], v21, v4, s[2:3]
	v_lshlrev_b64 v[3:4], 2, v[16:17]
	v_mov_b32_e32 v16, v19
	v_mad_u64_u32 v[16:17], s[2:3], s25, v15, v[16:17]
	v_mad_u64_u32 v[20:21], s[2:3], s24, v14, 0
	v_mov_b32_e32 v19, v16
	v_add_co_u32_e64 v3, s[2:3], v36, v3
	v_lshlrev_b64 v[16:17], 2, v[18:19]
	v_mov_b32_e32 v18, v21
	v_addc_co_u32_e64 v4, s[2:3], v37, v4, s[2:3]
	v_mad_u64_u32 v[18:19], s[2:3], s25, v14, v[18:19]
	v_mad_u64_u32 v[22:23], s[2:3], s24, v13, 0
	v_add_co_u32_e64 v24, s[2:3], v36, v16
	v_mov_b32_e32 v21, v18
	v_mov_b32_e32 v18, v23
	v_addc_co_u32_e64 v25, s[2:3], v37, v17, s[2:3]
	v_mad_u64_u32 v[18:19], s[2:3], s25, v13, v[18:19]
	v_lshlrev_b64 v[16:17], 2, v[20:21]
	v_mad_u64_u32 v[19:20], s[2:3], s24, v12, 0
	v_add_co_u32_e64 v26, s[2:3], v36, v16
	v_mov_b32_e32 v23, v18
	v_mov_b32_e32 v18, v20
	v_addc_co_u32_e64 v27, s[2:3], v37, v17, s[2:3]
	v_mad_u64_u32 v[20:21], s[2:3], s25, v12, v[18:19]
	v_lshlrev_b64 v[16:17], 2, v[22:23]
	v_mad_u64_u32 v[21:22], s[2:3], s24, v11, 0
	v_add_co_u32_e64 v28, s[2:3], v36, v16
	v_mov_b32_e32 v18, v22
	v_addc_co_u32_e64 v29, s[2:3], v37, v17, s[2:3]
	v_lshlrev_b64 v[16:17], 2, v[19:20]
	v_mad_u64_u32 v[18:19], s[2:3], s25, v11, v[18:19]
	v_mad_u64_u32 v[19:20], s[2:3], s24, v10, 0
	v_add_co_u32_e64 v30, s[2:3], v36, v16
	v_mov_b32_e32 v22, v18
	v_mov_b32_e32 v18, v20
	v_addc_co_u32_e64 v31, s[2:3], v37, v17, s[2:3]
	v_lshlrev_b64 v[16:17], 2, v[21:22]
	v_mad_u64_u32 v[20:21], s[2:3], s25, v10, v[18:19]
	v_add_co_u32_e64 v32, s[2:3], v36, v16
	v_addc_co_u32_e64 v33, s[2:3], v37, v17, s[2:3]
	v_lshlrev_b64 v[16:17], 2, v[19:20]
	v_mad_u64_u32 v[18:19], s[2:3], s24, v9, 0
	v_add_co_u32_e64 v34, s[2:3], v36, v16
	v_mov_b32_e32 v16, v19
	v_addc_co_u32_e64 v35, s[2:3], v37, v17, s[2:3]
	v_mad_u64_u32 v[16:17], s[2:3], s25, v9, v[16:17]
	v_mov_b32_e32 v19, v16
	v_lshlrev_b64 v[16:17], 2, v[18:19]
	v_add_co_u32_e64 v36, s[2:3], v36, v16
	v_addc_co_u32_e64 v37, s[2:3], v37, v17, s[2:3]
	global_load_dword v16, v[3:4], off
	global_load_dword v17, v[24:25], off
	;; [unrolled: 1-line block ×8, first 2 shown]
.LBB0_15:
	s_or_b64 exec, exec, s[10:11]
	v_mov_b32_e32 v4, s5
	v_or_b32_e32 v3, s4, v7
	v_cmp_gt_u64_e64 s[2:3], s[30:31], v[3:4]
	s_xor_b64 s[4:5], vcc, -1
	s_and_b64 s[10:11], s[0:1], s[2:3]
	s_and_b64 s[4:5], s[4:5], s[10:11]
	s_and_saveexec_b64 s[10:11], s[4:5]
	s_cbranch_execz .LBB0_17
; %bb.16:
	s_waitcnt vmcnt(6)
	v_mad_u64_u32 v[16:17], s[4:5], s26, v7, 0
	s_waitcnt vmcnt(4)
	v_mad_u64_u32 v[18:19], s[4:5], s24, v8, 0
	v_mov_b32_e32 v4, v17
	s_waitcnt vmcnt(2)
	v_mad_u64_u32 v[20:21], s[4:5], s27, v7, v[4:5]
	v_mov_b32_e32 v4, v19
	;; [unrolled: 3-line block ×3, first 2 shown]
	v_mov_b32_e32 v4, s21
	v_add_co_u32_e64 v20, s[4:5], s20, v5
	v_addc_co_u32_e64 v6, s[4:5], v4, v6, s[4:5]
	v_lshlrev_b64 v[4:5], 2, v[16:17]
	v_mad_u64_u32 v[16:17], s[4:5], s24, v15, 0
	v_add_co_u32_e64 v32, s[4:5], v20, v4
	v_mov_b32_e32 v19, v21
	v_addc_co_u32_e64 v33, s[4:5], v6, v5, s[4:5]
	v_mov_b32_e32 v6, v17
	v_lshlrev_b64 v[4:5], 2, v[18:19]
	v_mad_u64_u32 v[17:18], s[4:5], s25, v15, v[6:7]
	v_mad_u64_u32 v[18:19], s[4:5], s24, v14, 0
	v_add_co_u32_e64 v4, s[4:5], v32, v4
	v_mov_b32_e32 v6, v19
	v_addc_co_u32_e64 v5, s[4:5], v33, v5, s[4:5]
	v_mad_u64_u32 v[19:20], s[4:5], s25, v14, v[6:7]
	v_mad_u64_u32 v[20:21], s[4:5], s24, v13, 0
	v_lshlrev_b64 v[15:16], 2, v[16:17]
	v_add_co_u32_e64 v14, s[4:5], v32, v15
	v_addc_co_u32_e64 v15, s[4:5], v33, v16, s[4:5]
	v_mov_b32_e32 v6, v21
	s_waitcnt vmcnt(0)
	v_mad_u64_u32 v[22:23], s[4:5], s24, v12, 0
	v_lshlrev_b64 v[16:17], 2, v[18:19]
	v_mad_u64_u32 v[18:19], s[4:5], s25, v13, v[6:7]
	v_add_co_u32_e64 v24, s[4:5], v32, v16
	v_mov_b32_e32 v6, v23
	v_addc_co_u32_e64 v25, s[4:5], v33, v17, s[4:5]
	v_mov_b32_e32 v21, v18
	v_mad_u64_u32 v[12:13], s[4:5], s25, v12, v[6:7]
	v_mad_u64_u32 v[18:19], s[4:5], s24, v11, 0
	v_lshlrev_b64 v[16:17], 2, v[20:21]
	v_mov_b32_e32 v23, v12
	v_add_co_u32_e64 v26, s[4:5], v32, v16
	v_mov_b32_e32 v6, v19
	v_addc_co_u32_e64 v27, s[4:5], v33, v17, s[4:5]
	v_lshlrev_b64 v[12:13], 2, v[22:23]
	v_mad_u64_u32 v[16:17], s[4:5], s25, v11, v[6:7]
	v_mad_u64_u32 v[20:21], s[4:5], s24, v10, 0
	v_add_co_u32_e64 v11, s[4:5], v32, v12
	v_addc_co_u32_e64 v12, s[4:5], v33, v13, s[4:5]
	v_mad_u64_u32 v[22:23], s[4:5], s24, v9, 0
	v_mov_b32_e32 v19, v16
	v_lshlrev_b64 v[16:17], 2, v[18:19]
	v_mov_b32_e32 v6, v21
	v_mad_u64_u32 v[18:19], s[4:5], s25, v10, v[6:7]
	v_add_co_u32_e64 v28, s[4:5], v32, v16
	v_mov_b32_e32 v6, v23
	v_addc_co_u32_e64 v29, s[4:5], v33, v17, s[4:5]
	v_mad_u64_u32 v[9:10], s[4:5], s25, v9, v[6:7]
	v_mov_b32_e32 v21, v18
	v_lshlrev_b64 v[16:17], 2, v[20:21]
	v_mov_b32_e32 v23, v9
	v_add_co_u32_e64 v30, s[4:5], v32, v16
	v_lshlrev_b64 v[9:10], 2, v[22:23]
	v_addc_co_u32_e64 v31, s[4:5], v33, v17, s[4:5]
	v_add_co_u32_e64 v9, s[4:5], v32, v9
	v_addc_co_u32_e64 v10, s[4:5], v33, v10, s[4:5]
	global_load_dword v16, v[4:5], off
	global_load_dword v17, v[14:15], off
	;; [unrolled: 1-line block ×8, first 2 shown]
.LBB0_17:
	s_or_b64 exec, exec, s[10:11]
	v_lshlrev_b32_e32 v4, 2, v7
	s_and_saveexec_b64 s[4:5], s[0:1]
	s_cbranch_execz .LBB0_19
; %bb.18:
	s_waitcnt vmcnt(3)
	v_pk_add_f16 v5, v16, v20 neg_lo:[0,1] neg_hi:[0,1]
	s_waitcnt vmcnt(1)
	v_pk_add_f16 v6, v18, v22 neg_lo:[0,1] neg_hi:[0,1]
	v_pk_add_f16 v9, v17, v21 neg_lo:[0,1] neg_hi:[0,1]
	s_waitcnt vmcnt(0)
	v_pk_add_f16 v10, v19, v23 neg_lo:[0,1] neg_hi:[0,1]
	v_pk_add_f16 v12, v5, v6 op_sel:[0,1] op_sel_hi:[1,0]
	v_pk_add_f16 v13, v5, v6 op_sel:[0,1] op_sel_hi:[1,0] neg_lo:[0,1] neg_hi:[0,1]
	s_mov_b32 s0, 0xffff
	v_bfi_b32 v12, s0, v12, v13
	v_pk_add_f16 v13, v9, v10 op_sel:[0,1] op_sel_hi:[1,0]
	v_pk_add_f16 v14, v9, v10 op_sel:[0,1] op_sel_hi:[1,0] neg_lo:[0,1] neg_hi:[0,1]
	v_bfi_b32 v13, s0, v13, v14
	v_pk_fma_f16 v14, v9, 2.0, v13 op_sel_hi:[1,0,1] neg_lo:[0,0,1] neg_hi:[0,0,1]
	v_pk_fma_f16 v20, v5, 2.0, v12 op_sel_hi:[1,0,1] neg_lo:[0,0,1] neg_hi:[0,0,1]
	;; [unrolled: 1-line block ×6, first 2 shown]
	v_pk_add_f16 v6, v5, v6 neg_lo:[0,1] neg_hi:[0,1]
	v_pk_add_f16 v10, v9, v10 neg_lo:[0,1] neg_hi:[0,1]
	v_pk_add_f16 v16, v6, v10 op_sel:[0,1] op_sel_hi:[1,0]
	v_pk_add_f16 v17, v6, v10 op_sel:[0,1] op_sel_hi:[1,0] neg_lo:[0,1] neg_hi:[0,1]
	v_bfi_b32 v16, s0, v16, v17
	v_pk_fma_f16 v17, v6, 2.0, v16 op_sel_hi:[1,0,1] neg_lo:[0,0,1] neg_hi:[0,0,1]
	v_pk_fma_f16 v5, v5, 2.0, v6 op_sel_hi:[1,0,1] neg_lo:[0,0,1] neg_hi:[0,0,1]
	;; [unrolled: 1-line block ×3, first 2 shown]
	s_movk_i32 s1, 0x39a8
	v_pk_add_f16 v6, v5, v6 neg_lo:[0,1] neg_hi:[0,1]
	v_pk_mul_f16 v15, v14, s1 op_sel_hi:[1,0]
	v_pk_fma_f16 v14, v14, s1, v20 op_sel_hi:[1,0,1] neg_lo:[1,0,0] neg_hi:[1,0,0]
	v_pk_mul_f16 v18, v13, s1 op_sel_hi:[1,0]
	v_pk_fma_f16 v13, v13, s1, v12 op_sel_hi:[1,0,1]
	v_lshrrev_b32_e32 v9, 16, v5
	v_lshrrev_b32_e32 v10, 16, v6
	v_pk_add_f16 v21, v14, v15 op_sel:[0,1] op_sel_hi:[1,0]
	v_pk_add_f16 v14, v14, v15 op_sel:[0,1] op_sel_hi:[1,0] neg_lo:[0,1] neg_hi:[0,1]
	v_pk_add_f16 v19, v13, v18 op_sel:[0,1] op_sel_hi:[1,0]
	v_pk_add_f16 v13, v13, v18 op_sel:[0,1] op_sel_hi:[1,0] neg_lo:[0,1] neg_hi:[0,1]
	v_fma_f16 v9, v9, 2.0, -v10
	v_lshlrev_b32_e32 v11, 9, v8
	v_bfi_b32 v14, s0, v21, v14
	v_bfi_b32 v13, s0, v19, v13
	v_lshlrev_b32_e32 v9, 16, v9
	v_fma_f16 v5, v5, 2.0, -v6
	v_add3_u32 v11, 0, v11, v4
	v_pk_fma_f16 v15, v20, 2.0, v14 op_sel_hi:[1,0,1] neg_lo:[0,0,1] neg_hi:[0,0,1]
	v_pk_fma_f16 v12, v12, 2.0, v13 op_sel_hi:[1,0,1] neg_lo:[0,0,1] neg_hi:[0,0,1]
	v_or_b32_sdwa v5, v9, v5 dst_sel:DWORD dst_unused:UNUSED_PAD src0_sel:DWORD src1_sel:WORD_0
	ds_write2_b32 v11, v17, v12 offset0:32 offset1:48
	ds_write2_b32 v11, v5, v15 offset1:16
	ds_write2_b32 v11, v6, v14 offset0:64 offset1:80
	ds_write2_b32 v11, v16, v13 offset0:96 offset1:112
.LBB0_19:
	s_or_b64 exec, exec, s[4:5]
	v_bfe_u32 v6, v0, 4, 3
	v_lshlrev_b32_e32 v5, 3, v6
	s_load_dwordx2 s[0:1], s[6:7], 0x0
	s_waitcnt vmcnt(0) lgkmcnt(0)
	s_barrier
	global_load_dwordx2 v[9:10], v5, s[8:9]
	v_lshlrev_b32_e32 v5, 6, v8
	v_lshrrev_b32_e32 v11, 7, v0
	v_add3_u32 v5, 0, v5, v4
	v_mul_u32_u24_e32 v13, 24, v11
	ds_read2st64_b32 v[11:12], v5 offset1:6
	ds_read_b32 v14, v5 offset:3072
	v_or_b32_e32 v6, v13, v6
	v_lshlrev_b32_e32 v6, 6, v6
	v_add3_u32 v4, 0, v6, v4
	s_waitcnt lgkmcnt(1)
	v_lshrrev_b32_e32 v6, 16, v12
	s_waitcnt lgkmcnt(0)
	v_lshrrev_b32_e32 v13, 16, v14
	v_lshrrev_b32_e32 v15, 16, v11
	s_mov_b32 s4, 0xbaee
	s_movk_i32 s5, 0x3aee
	s_or_b64 s[2:3], vcc, s[2:3]
	s_waitcnt vmcnt(0)
	s_barrier
	v_mul_f16_sdwa v16, v9, v6 dst_sel:DWORD dst_unused:UNUSED_PAD src0_sel:WORD_1 src1_sel:DWORD
	v_mul_f16_sdwa v17, v9, v12 dst_sel:DWORD dst_unused:UNUSED_PAD src0_sel:WORD_1 src1_sel:DWORD
	v_mul_f16_sdwa v18, v10, v13 dst_sel:DWORD dst_unused:UNUSED_PAD src0_sel:WORD_1 src1_sel:DWORD
	v_mul_f16_sdwa v19, v10, v14 dst_sel:DWORD dst_unused:UNUSED_PAD src0_sel:WORD_1 src1_sel:DWORD
	v_fma_f16 v12, v9, v12, v16
	v_fma_f16 v6, v9, v6, -v17
	v_fma_f16 v9, v10, v14, v18
	v_fma_f16 v10, v10, v13, -v19
	v_add_f16_e32 v14, v12, v9
	v_sub_f16_e32 v16, v6, v10
	v_add_f16_e32 v17, v6, v15
	v_add_f16_e32 v6, v6, v10
	v_add_f16_e32 v13, v12, v11
	v_sub_f16_e32 v12, v12, v9
	v_fma_f16 v11, v14, -0.5, v11
	v_fma_f16 v6, v6, -0.5, v15
	v_add_f16_e32 v9, v13, v9
	v_add_f16_e32 v10, v17, v10
	v_fma_f16 v13, v16, s4, v11
	v_fma_f16 v14, v12, s5, v6
	;; [unrolled: 1-line block ×4, first 2 shown]
	v_pack_b32_f16 v9, v9, v10
	v_pack_b32_f16 v10, v13, v14
	;; [unrolled: 1-line block ×3, first 2 shown]
	ds_write2st64_b32 v4, v9, v10 offset1:2
	ds_write_b32 v4, v6 offset:1024
	s_waitcnt lgkmcnt(0)
	s_barrier
	s_and_saveexec_b64 s[6:7], s[2:3]
	s_cbranch_execz .LBB0_21
; %bb.20:
	s_mov_b32 s2, 0xaaaaaab
	v_mul_hi_u32 v4, v8, s2
	s_mul_i32 s1, s1, s28
	s_mul_hi_u32 s2, s0, s28
	s_movk_i32 s3, 0xffe8
	v_mul_u32_u24_e32 v4, 24, v4
	v_sub_u32_e32 v6, v8, v4
	v_lshlrev_b32_e32 v4, 3, v6
	global_load_dwordx2 v[8:9], v4, s[8:9] offset:64
	ds_read2st64_b32 v[10:11], v5 offset1:6
	ds_read_b32 v5, v5 offset:3072
	v_add_u32_e32 v4, 48, v6
	v_mul_lo_u32 v4, v4, v3
	v_mul_lo_u32 v14, v6, v3
	s_add_i32 s1, s2, s1
	s_add_i32 s6, 0, 0x1200
	v_lshrrev_b32_e32 v18, 10, v4
	v_and_b32_e32 v19, 63, v4
	v_lshrrev_b32_e32 v20, 4, v4
	s_waitcnt lgkmcnt(0)
	v_mad_u64_u32 v[3:4], s[2:3], v3, s3, v[4:5]
	v_lshrrev_b32_e32 v16, 10, v14
	v_and_b32_e32 v17, 63, v14
	v_and_b32_e32 v4, 0xfc, v16
	v_lshl_add_u32 v16, v17, 2, 0
	v_and_b32_e32 v17, 0xfc, v18
	v_lshl_add_u32 v18, v19, 2, 0
	v_and_b32_e32 v19, 0xfc, v20
	v_lshrrev_b32_e32 v20, 10, v3
	v_and_b32_e32 v21, 63, v3
	v_lshrrev_b32_e32 v3, 4, v3
	v_and_b32_e32 v20, 0xfc, v20
	v_and_b32_e32 v3, 0xfc, v3
	v_add_u32_e32 v4, s6, v4
	v_add_u32_e32 v17, s6, v17
	;; [unrolled: 1-line block ×3, first 2 shown]
	v_lshl_add_u32 v21, v21, 2, 0
	v_add_u32_e32 v20, s6, v20
	v_add_u32_e32 v3, s6, v3
	ds_read_b32 v17, v17 offset:512
	ds_read_b32 v18, v18 offset:4608
	;; [unrolled: 1-line block ×8, first 2 shown]
	s_waitcnt lgkmcnt(6)
	v_lshrrev_b32_e32 v22, 16, v18
	s_waitcnt lgkmcnt(5)
	v_mul_f16_sdwa v23, v18, v19 dst_sel:DWORD dst_unused:UNUSED_PAD src0_sel:DWORD src1_sel:WORD_1
	v_mul_f16_sdwa v24, v22, v19 dst_sel:DWORD dst_unused:UNUSED_PAD src0_sel:DWORD src1_sel:WORD_1
	v_fma_f16 v22, v22, v19, v23
	v_fma_f16 v18, v18, v19, -v24
	v_mul_f16_sdwa v19, v22, v17 dst_sel:DWORD dst_unused:UNUSED_PAD src0_sel:DWORD src1_sel:WORD_1
	v_fma_f16 v19, v17, v18, -v19
	v_mul_f16_sdwa v18, v18, v17 dst_sel:DWORD dst_unused:UNUSED_PAD src0_sel:DWORD src1_sel:WORD_1
	v_fma_f16 v17, v17, v22, v18
	s_waitcnt lgkmcnt(3)
	v_lshrrev_b32_e32 v18, 16, v21
	s_waitcnt lgkmcnt(2)
	v_mul_f16_sdwa v22, v21, v3 dst_sel:DWORD dst_unused:UNUSED_PAD src0_sel:DWORD src1_sel:WORD_1
	v_mul_f16_sdwa v23, v18, v3 dst_sel:DWORD dst_unused:UNUSED_PAD src0_sel:DWORD src1_sel:WORD_1
	v_fma_f16 v18, v18, v3, v22
	v_fma_f16 v3, v21, v3, -v23
	v_mul_f16_sdwa v21, v18, v20 dst_sel:DWORD dst_unused:UNUSED_PAD src0_sel:DWORD src1_sel:WORD_1
	v_lshrrev_b32_e32 v13, 16, v11
	v_lshrrev_b32_e32 v15, 16, v5
	v_fma_f16 v21, v20, v3, -v21
	v_mul_f16_sdwa v3, v3, v20 dst_sel:DWORD dst_unused:UNUSED_PAD src0_sel:DWORD src1_sel:WORD_1
	v_fma_f16 v3, v20, v18, v3
	v_lshrrev_b32_e32 v12, 16, v10
	v_lshrrev_b32_e32 v14, 4, v14
	v_mul_hi_u32_u24_e32 v0, 0xaaaaab, v0
	s_mul_i32 s0, s0, s28
	s_lshl_b64 s[0:1], s[0:1], 2
	s_add_u32 s0, s22, s0
	s_addc_u32 s1, s23, s1
	s_waitcnt vmcnt(0)
	v_mul_f16_sdwa v18, v8, v11 dst_sel:DWORD dst_unused:UNUSED_PAD src0_sel:WORD_1 src1_sel:DWORD
	v_mul_f16_sdwa v20, v9, v5 dst_sel:DWORD dst_unused:UNUSED_PAD src0_sel:WORD_1 src1_sel:DWORD
	;; [unrolled: 1-line block ×4, first 2 shown]
	v_fma_f16 v13, v8, v13, -v18
	v_fma_f16 v15, v9, v15, -v20
	v_fma_f16 v8, v8, v11, v22
	v_fma_f16 v5, v9, v5, v23
	v_add_f16_e32 v9, v13, v15
	v_add_f16_e32 v20, v8, v5
	v_sub_f16_e32 v11, v8, v5
	v_sub_f16_e32 v18, v13, v15
	v_fma_f16 v9, v9, -0.5, v12
	v_fma_f16 v20, v20, -0.5, v10
	v_fma_f16 v22, v11, s4, v9
	v_fma_f16 v23, v18, s5, v20
	;; [unrolled: 1-line block ×4, first 2 shown]
	v_mul_f16_e32 v18, v23, v17
	v_mul_f16_e32 v17, v22, v17
	;; [unrolled: 1-line block ×4, first 2 shown]
	v_fma_f16 v18, v22, v19, -v18
	v_fma_f16 v17, v23, v19, v17
	v_fma_f16 v19, v9, v21, -v20
	v_and_b32_e32 v9, 0xfc, v14
	v_add_u32_e32 v9, s6, v9
	ds_read_b32 v9, v9 offset:256
	v_fma_f16 v11, v11, v21, v3
	v_add_f16_e32 v3, v13, v12
	v_add_f16_e32 v12, v3, v15
	s_waitcnt lgkmcnt(1)
	v_lshrrev_b32_e32 v3, 16, v16
	s_waitcnt lgkmcnt(0)
	v_mul_f16_sdwa v13, v3, v9 dst_sel:DWORD dst_unused:UNUSED_PAD src0_sel:DWORD src1_sel:WORD_1
	v_mul_f16_sdwa v14, v16, v9 dst_sel:DWORD dst_unused:UNUSED_PAD src0_sel:DWORD src1_sel:WORD_1
	v_fma_f16 v13, v16, v9, -v13
	v_fma_f16 v3, v3, v9, v14
	v_add_f16_e32 v8, v8, v10
	v_mul_f16_sdwa v9, v3, v4 dst_sel:DWORD dst_unused:UNUSED_PAD src0_sel:DWORD src1_sel:WORD_1
	v_add_f16_e32 v10, v8, v5
	v_mul_f16_sdwa v5, v13, v4 dst_sel:DWORD dst_unused:UNUSED_PAD src0_sel:DWORD src1_sel:WORD_1
	v_fma_f16 v14, v4, v13, -v9
	v_fma_f16 v13, v4, v3, v5
	v_mul_f16_e32 v3, v10, v13
	v_fma_f16 v15, v12, v14, -v3
	v_mad_u64_u32 v[3:4], s[2:3], s18, v7, 0
	s_movk_i32 s2, 0x48
	v_mad_u32_u24 v16, v0, s2, v6
	v_mad_u64_u32 v[5:6], s[2:3], s16, v16, 0
	v_mov_b32_e32 v0, v4
	v_mad_u64_u32 v[7:8], s[2:3], s19, v7, v[0:1]
	v_mov_b32_e32 v0, v6
	v_mad_u64_u32 v[8:9], s[2:3], s17, v16, v[0:1]
	v_mul_f16_e32 v0, v12, v13
	v_fma_f16 v9, v10, v14, v0
	v_lshlrev_b64 v[0:1], 2, v[1:2]
	v_mov_b32_e32 v4, v7
	v_mov_b32_e32 v2, s1
	v_add_co_u32_e32 v7, vcc, s0, v0
	v_addc_co_u32_e32 v2, vcc, v2, v1, vcc
	v_lshlrev_b64 v[0:1], 2, v[3:4]
	v_add_u32_e32 v4, 24, v16
	v_add_co_u32_e32 v7, vcc, v7, v0
	v_mov_b32_e32 v6, v8
	v_addc_co_u32_e32 v8, vcc, v2, v1, vcc
	v_mad_u64_u32 v[2:3], s[0:1], s16, v4, 0
	v_lshlrev_b64 v[0:1], 2, v[5:6]
	v_pack_b32_f16 v6, v9, v15
	v_mad_u64_u32 v[3:4], s[0:1], s17, v4, v[3:4]
	v_add_u32_e32 v9, 48, v16
	v_mad_u64_u32 v[4:5], s[0:1], s16, v9, 0
	v_add_co_u32_e32 v0, vcc, v7, v0
	v_addc_co_u32_e32 v1, vcc, v8, v1, vcc
	global_store_dword v[0:1], v6, off
	v_lshlrev_b64 v[0:1], 2, v[2:3]
	v_mov_b32_e32 v2, v5
	v_mad_u64_u32 v[2:3], s[0:1], s17, v9, v[2:3]
	v_add_co_u32_e32 v0, vcc, v7, v0
	v_addc_co_u32_e32 v1, vcc, v8, v1, vcc
	v_pack_b32_f16 v3, v11, v19
	v_mov_b32_e32 v5, v2
	global_store_dword v[0:1], v3, off
	v_lshlrev_b64 v[0:1], 2, v[4:5]
	v_pack_b32_f16 v2, v17, v18
	v_add_co_u32_e32 v0, vcc, v7, v0
	v_addc_co_u32_e32 v1, vcc, v8, v1, vcc
	global_store_dword v[0:1], v2, off
.LBB0_21:
	s_endpgm
	.section	.rodata,"a",@progbits
	.p2align	6, 0x0
	.amdhsa_kernel fft_rtc_back_len72_factors_8_3_3_wgs_384_tpt_24_half_op_CI_CI_sbcc_twdbase6_3step_dirReg
		.amdhsa_group_segment_fixed_size 0
		.amdhsa_private_segment_fixed_size 0
		.amdhsa_kernarg_size 112
		.amdhsa_user_sgpr_count 6
		.amdhsa_user_sgpr_private_segment_buffer 1
		.amdhsa_user_sgpr_dispatch_ptr 0
		.amdhsa_user_sgpr_queue_ptr 0
		.amdhsa_user_sgpr_kernarg_segment_ptr 1
		.amdhsa_user_sgpr_dispatch_id 0
		.amdhsa_user_sgpr_flat_scratch_init 0
		.amdhsa_user_sgpr_private_segment_size 0
		.amdhsa_uses_dynamic_stack 0
		.amdhsa_system_sgpr_private_segment_wavefront_offset 0
		.amdhsa_system_sgpr_workgroup_id_x 1
		.amdhsa_system_sgpr_workgroup_id_y 0
		.amdhsa_system_sgpr_workgroup_id_z 0
		.amdhsa_system_sgpr_workgroup_info 0
		.amdhsa_system_vgpr_workitem_id 0
		.amdhsa_next_free_vgpr 38
		.amdhsa_next_free_sgpr 51
		.amdhsa_reserve_vcc 1
		.amdhsa_reserve_flat_scratch 0
		.amdhsa_float_round_mode_32 0
		.amdhsa_float_round_mode_16_64 0
		.amdhsa_float_denorm_mode_32 3
		.amdhsa_float_denorm_mode_16_64 3
		.amdhsa_dx10_clamp 1
		.amdhsa_ieee_mode 1
		.amdhsa_fp16_overflow 0
		.amdhsa_exception_fp_ieee_invalid_op 0
		.amdhsa_exception_fp_denorm_src 0
		.amdhsa_exception_fp_ieee_div_zero 0
		.amdhsa_exception_fp_ieee_overflow 0
		.amdhsa_exception_fp_ieee_underflow 0
		.amdhsa_exception_fp_ieee_inexact 0
		.amdhsa_exception_int_div_zero 0
	.end_amdhsa_kernel
	.text
.Lfunc_end0:
	.size	fft_rtc_back_len72_factors_8_3_3_wgs_384_tpt_24_half_op_CI_CI_sbcc_twdbase6_3step_dirReg, .Lfunc_end0-fft_rtc_back_len72_factors_8_3_3_wgs_384_tpt_24_half_op_CI_CI_sbcc_twdbase6_3step_dirReg
                                        ; -- End function
	.section	.AMDGPU.csdata,"",@progbits
; Kernel info:
; codeLenInByte = 4340
; NumSgprs: 55
; NumVgprs: 38
; ScratchSize: 0
; MemoryBound: 0
; FloatMode: 240
; IeeeMode: 1
; LDSByteSize: 0 bytes/workgroup (compile time only)
; SGPRBlocks: 6
; VGPRBlocks: 9
; NumSGPRsForWavesPerEU: 55
; NumVGPRsForWavesPerEU: 38
; Occupancy: 6
; WaveLimiterHint : 1
; COMPUTE_PGM_RSRC2:SCRATCH_EN: 0
; COMPUTE_PGM_RSRC2:USER_SGPR: 6
; COMPUTE_PGM_RSRC2:TRAP_HANDLER: 0
; COMPUTE_PGM_RSRC2:TGID_X_EN: 1
; COMPUTE_PGM_RSRC2:TGID_Y_EN: 0
; COMPUTE_PGM_RSRC2:TGID_Z_EN: 0
; COMPUTE_PGM_RSRC2:TIDIG_COMP_CNT: 0
	.type	__hip_cuid_6e86408f8b131dac,@object ; @__hip_cuid_6e86408f8b131dac
	.section	.bss,"aw",@nobits
	.globl	__hip_cuid_6e86408f8b131dac
__hip_cuid_6e86408f8b131dac:
	.byte	0                               ; 0x0
	.size	__hip_cuid_6e86408f8b131dac, 1

	.ident	"AMD clang version 19.0.0git (https://github.com/RadeonOpenCompute/llvm-project roc-6.4.0 25133 c7fe45cf4b819c5991fe208aaa96edf142730f1d)"
	.section	".note.GNU-stack","",@progbits
	.addrsig
	.addrsig_sym __hip_cuid_6e86408f8b131dac
	.amdgpu_metadata
---
amdhsa.kernels:
  - .args:
      - .actual_access:  read_only
        .address_space:  global
        .offset:         0
        .size:           8
        .value_kind:     global_buffer
      - .address_space:  global
        .offset:         8
        .size:           8
        .value_kind:     global_buffer
      - .offset:         16
        .size:           8
        .value_kind:     by_value
      - .actual_access:  read_only
        .address_space:  global
        .offset:         24
        .size:           8
        .value_kind:     global_buffer
      - .actual_access:  read_only
        .address_space:  global
        .offset:         32
        .size:           8
        .value_kind:     global_buffer
      - .actual_access:  read_only
        .address_space:  global
        .offset:         40
        .size:           8
        .value_kind:     global_buffer
      - .offset:         48
        .size:           8
        .value_kind:     by_value
      - .actual_access:  read_only
        .address_space:  global
        .offset:         56
        .size:           8
        .value_kind:     global_buffer
      - .actual_access:  read_only
        .address_space:  global
        .offset:         64
        .size:           8
        .value_kind:     global_buffer
      - .offset:         72
        .size:           4
        .value_kind:     by_value
      - .actual_access:  read_only
        .address_space:  global
        .offset:         80
        .size:           8
        .value_kind:     global_buffer
      - .actual_access:  read_only
        .address_space:  global
        .offset:         88
        .size:           8
        .value_kind:     global_buffer
      - .actual_access:  read_only
        .address_space:  global
        .offset:         96
        .size:           8
        .value_kind:     global_buffer
      - .actual_access:  write_only
        .address_space:  global
        .offset:         104
        .size:           8
        .value_kind:     global_buffer
    .group_segment_fixed_size: 0
    .kernarg_segment_align: 8
    .kernarg_segment_size: 112
    .language:       OpenCL C
    .language_version:
      - 2
      - 0
    .max_flat_workgroup_size: 384
    .name:           fft_rtc_back_len72_factors_8_3_3_wgs_384_tpt_24_half_op_CI_CI_sbcc_twdbase6_3step_dirReg
    .private_segment_fixed_size: 0
    .sgpr_count:     55
    .sgpr_spill_count: 0
    .symbol:         fft_rtc_back_len72_factors_8_3_3_wgs_384_tpt_24_half_op_CI_CI_sbcc_twdbase6_3step_dirReg.kd
    .uniform_work_group_size: 1
    .uses_dynamic_stack: false
    .vgpr_count:     38
    .vgpr_spill_count: 0
    .wavefront_size: 64
amdhsa.target:   amdgcn-amd-amdhsa--gfx906
amdhsa.version:
  - 1
  - 2
...

	.end_amdgpu_metadata
